;; amdgpu-corpus repo=ROCm/rocFFT kind=compiled arch=gfx906 opt=O3
	.text
	.amdgcn_target "amdgcn-amd-amdhsa--gfx906"
	.amdhsa_code_object_version 6
	.protected	fft_rtc_fwd_len169_factors_13_13_wgs_156_tpt_13_dp_op_CI_CI_sbrc_xy_z_diag ; -- Begin function fft_rtc_fwd_len169_factors_13_13_wgs_156_tpt_13_dp_op_CI_CI_sbrc_xy_z_diag
	.globl	fft_rtc_fwd_len169_factors_13_13_wgs_156_tpt_13_dp_op_CI_CI_sbrc_xy_z_diag
	.p2align	8
	.type	fft_rtc_fwd_len169_factors_13_13_wgs_156_tpt_13_dp_op_CI_CI_sbrc_xy_z_diag,@function
fft_rtc_fwd_len169_factors_13_13_wgs_156_tpt_13_dp_op_CI_CI_sbrc_xy_z_diag: ; @fft_rtc_fwd_len169_factors_13_13_wgs_156_tpt_13_dp_op_CI_CI_sbrc_xy_z_diag
; %bb.0:
	s_load_dwordx8 s[8:15], s[4:5], 0x0
                                        ; kill: killed $sgpr4_sgpr5
	v_mov_b32_e32 v13, 0
	s_mov_b32 s50, 0x4267c47c
	s_mov_b32 s30, 0x42a4c3d2
	s_mov_b32 s36, 0x66966769
	s_waitcnt lgkmcnt(0)
	s_load_dwordx4 s[0:3], s[12:13], 0x8
	s_nop 0
	s_load_dwordx2 s[12:13], s[4:5], 0x20
	s_load_dwordx4 s[16:19], s[4:5], 0x58
	s_load_dwordx4 s[20:23], s[14:15], 0x0
	s_waitcnt lgkmcnt(0)
	s_load_dword s23, s[14:15], 0x10
	s_mov_b32 s40, 0x4bc48dbf
	s_mov_b32 s51, 0xbfddbe06
	s_add_i32 s1, s2, -1
	s_mul_hi_u32 s1, s1, 0xaaaaaaab
	s_lshr_b32 s1, s1, 3
	s_add_i32 s7, s1, 1
	s_mul_i32 s7, s7, s0
	v_cvt_f32_u32_e32 v1, s7
	s_sub_i32 s4, 0, s7
	s_load_dwordx4 s[0:3], s[12:13], 0x0
	s_waitcnt lgkmcnt(0)
	s_load_dword s3, s[12:13], 0x10
	v_rcp_iflag_f32_e32 v1, v1
	s_mov_b32 s31, 0xbfea55e2
	s_mov_b32 s37, 0xbfefc445
	;; [unrolled: 1-line block ×3, first 2 shown]
	v_mul_f32_e32 v1, 0x4f7ffffe, v1
	v_cvt_u32_f32_e32 v1, v1
	s_mov_b32 s28, 0x93053d00
	s_mov_b32 s29, 0xbfef11f4
	;; [unrolled: 1-line block ×3, first 2 shown]
	v_readfirstlane_b32 s5, v1
	s_mul_i32 s4, s4, s5
	s_mul_hi_u32 s4, s5, s4
	s_add_i32 s5, s5, s4
	s_mul_hi_u32 s4, s6, s5
	s_mul_i32 s5, s4, s7
	s_sub_i32 s5, s6, s5
	s_add_i32 s24, s4, 1
	s_sub_i32 s25, s5, s7
	s_cmp_ge_u32 s5, s7
	s_cselect_b32 s4, s24, s4
	s_cselect_b32 s5, s25, s5
	s_add_i32 s24, s4, 1
	s_cmp_ge_u32 s5, s7
	s_cselect_b32 s33, s24, s4
	s_mul_i32 s4, s33, s7
	s_sub_i32 s4, s6, s4
	s_mul_hi_u32 s5, s4, 0x4ec4ec4f
	s_lshr_b32 s5, s5, 2
	s_mul_i32 s6, s5, 13
	s_sub_i32 s4, s4, s6
	s_add_i32 s6, s5, s4
	s_mul_hi_u32 s5, s6, 0x60f25deb
	s_lshr_b32 s26, s5, 6
	s_mulk_i32 s26, 0xa9
	s_mul_i32 s4, s4, 12
	s_sub_i32 s52, s6, s26
	s_lshl_b64 s[24:25], s[10:11], 3
	s_mul_i32 s7, s4, s23
	s_mul_i32 s10, s1, s4
	s_mul_hi_u32 s11, s0, s4
	s_mul_i32 s6, s52, s22
	s_add_i32 s5, s11, s10
	s_add_i32 s10, s6, s7
	s_add_u32 s6, s14, s24
	s_addc_u32 s7, s15, s25
	s_load_dwordx2 s[14:15], s[6:7], 0x0
	v_mul_u32_u24_e32 v1, 0x184, v0
	v_lshrrev_b32_e32 v4, 16, v1
	v_mul_lo_u16_e32 v1, 0xa9, v4
	v_sub_u16_e32 v3, v0, v1
	s_waitcnt lgkmcnt(0)
	s_mul_i32 s6, s15, s33
	s_mul_hi_u32 s7, s14, s33
	s_add_i32 s15, s7, s6
	s_add_u32 s6, s12, s24
	s_addc_u32 s7, s13, s25
	s_load_dwordx2 s[6:7], s[6:7], 0x0
	v_mad_u64_u32 v[1:2], s[26:27], s20, v3, 0
	s_mul_i32 s14, s14, s33
	s_mov_b32 s11, 0
	v_mad_u64_u32 v[2:3], s[12:13], s21, v3, v[2:3]
	s_waitcnt lgkmcnt(0)
	s_mul_i32 s7, s7, s33
	s_mul_hi_u32 s12, s6, s33
	s_add_i32 s7, s12, s7
	s_lshl_b64 s[12:13], s[14:15], 4
	s_add_u32 s14, s16, s12
	s_addc_u32 s15, s17, s13
	s_lshl_b64 s[12:13], s[10:11], 4
	s_add_u32 s10, s14, s12
	v_lshlrev_b64 v[1:2], 4, v[1:2]
	s_addc_u32 s12, s15, s13
	v_mov_b32_e32 v3, s12
	v_add_co_u32_e32 v5, vcc, s10, v1
	v_addc_co_u32_e32 v6, vcc, v3, v2, vcc
	v_add_u32_e32 v3, 0x9c, v0
	v_mul_lo_u32 v12, s23, v4
	v_mul_u32_u24_e32 v4, 0x184, v3
	v_lshrrev_b32_e32 v7, 16, v4
	v_mul_lo_u16_e32 v4, 0xa9, v7
	v_sub_u16_e32 v8, v3, v4
	v_lshlrev_b64 v[1:2], 4, v[12:13]
	v_mad_u64_u32 v[3:4], s[14:15], s20, v8, 0
	v_add_co_u32_e32 v9, vcc, v5, v1
	v_addc_co_u32_e32 v10, vcc, v6, v2, vcc
	v_add_u32_e32 v2, 0x138, v0
	v_mov_b32_e32 v1, v4
	v_mul_u32_u24_e32 v4, 0x184, v2
	v_lshrrev_b32_e32 v11, 16, v4
	v_mul_lo_u16_e32 v4, 0xa9, v11
	v_sub_u16_e32 v4, v2, v4
	v_mad_u64_u32 v[5:6], s[14:15], s20, v4, 0
	v_mad_u64_u32 v[1:2], s[14:15], s21, v8, v[1:2]
	v_mov_b32_e32 v2, v6
	v_add_u32_e32 v6, 0x1d4, v0
	v_mul_lo_u32 v12, s23, v7
	v_mul_u32_u24_e32 v7, 0x184, v6
	v_lshrrev_b32_e32 v18, 16, v7
	v_mul_lo_u16_e32 v7, 0xa9, v18
	v_sub_u16_e32 v6, v6, v7
	v_mad_u64_u32 v[7:8], s[14:15], s20, v6, 0
	v_mad_u64_u32 v[14:15], s[14:15], s21, v4, v[2:3]
	v_mov_b32_e32 v4, v1
	v_mov_b32_e32 v1, v8
	v_mad_u64_u32 v[1:2], s[14:15], s21, v6, v[1:2]
	v_mov_b32_e32 v6, v14
	v_lshlrev_b64 v[14:15], 4, v[12:13]
	v_mov_b32_e32 v8, v1
	v_lshlrev_b64 v[1:2], 4, v[3:4]
	v_mul_lo_u32 v12, s23, v11
	v_lshlrev_b64 v[3:4], 4, v[5:6]
	v_lshlrev_b64 v[16:17], 4, v[7:8]
	v_mov_b32_e32 v7, s12
	v_add_co_u32_e32 v1, vcc, s10, v1
	v_addc_co_u32_e32 v2, vcc, v7, v2, vcc
	v_add_co_u32_e32 v3, vcc, s10, v3
	v_addc_co_u32_e32 v4, vcc, v7, v4, vcc
	v_lshlrev_b64 v[5:6], 4, v[12:13]
	v_add_co_u32_e32 v14, vcc, v1, v14
	v_addc_co_u32_e32 v15, vcc, v2, v15, vcc
	v_add_co_u32_e32 v22, vcc, v3, v5
	v_addc_co_u32_e32 v23, vcc, v4, v6, vcc
	global_load_dwordx4 v[1:4], v[9:10], off
	global_load_dwordx4 v[5:8], v[14:15], off
	v_add_u32_e32 v9, 0x270, v0
	v_mul_u32_u24_e32 v10, 0x184, v9
	v_mul_lo_u32 v12, s23, v18
	v_lshrrev_b32_e32 v18, 16, v10
	v_mul_lo_u16_e32 v10, 0xa9, v18
	v_sub_u16_e32 v14, v9, v10
	v_mad_u64_u32 v[9:10], s[14:15], s20, v14, 0
	v_mov_b32_e32 v11, s12
	v_add_co_u32_e32 v16, vcc, s10, v16
	v_addc_co_u32_e32 v17, vcc, v11, v17, vcc
	v_lshlrev_b64 v[11:12], 4, v[12:13]
	s_mov_b32 s16, 0x2ef20147
	v_mad_u64_u32 v[14:15], s[14:15], s21, v14, v[10:11]
	v_add_co_u32_e32 v24, vcc, v16, v11
	v_mov_b32_e32 v10, v14
	v_add_u32_e32 v14, 0x30c, v0
	v_mul_u32_u24_e32 v15, 0xc1f, v14
	v_lshrrev_b32_e32 v28, 19, v15
	v_addc_co_u32_e32 v25, vcc, v17, v12, vcc
	v_mul_lo_u32 v12, s23, v18
	v_mul_lo_u16_e32 v15, 0xa9, v28
	v_lshlrev_b64 v[9:10], 4, v[9:10]
	v_sub_u16_e32 v14, v14, v15
	v_mad_u64_u32 v[26:27], s[14:15], s20, v14, 0
	v_mov_b32_e32 v11, s12
	v_add_co_u32_e32 v15, vcc, s10, v9
	v_addc_co_u32_e32 v16, vcc, v11, v10, vcc
	v_lshlrev_b64 v[9:10], 4, v[12:13]
	v_mov_b32_e32 v11, v27
	v_add_co_u32_e32 v9, vcc, v15, v9
	v_mad_u64_u32 v[11:12], s[14:15], s21, v14, v[11:12]
	v_addc_co_u32_e32 v10, vcc, v16, v10, vcc
	global_load_dwordx4 v[14:17], v[22:23], off
	global_load_dwordx4 v[18:21], v[24:25], off
	v_add_u32_e32 v24, 0x3a8, v0
	v_mul_u32_u24_e32 v25, 0xc1f, v24
	v_lshrrev_b32_e32 v33, 19, v25
	v_mul_lo_u16_e32 v25, 0xa9, v33
	v_sub_u16_e32 v24, v24, v25
	v_mov_b32_e32 v27, v11
	v_mad_u64_u32 v[30:31], s[14:15], s20, v24, 0
	v_lshlrev_b64 v[22:23], 4, v[26:27]
	v_mul_lo_u32 v12, s23, v28
	v_mov_b32_e32 v11, s12
	v_add_co_u32_e32 v25, vcc, s10, v22
	v_addc_co_u32_e32 v23, vcc, v11, v23, vcc
	v_mov_b32_e32 v22, v31
	v_mad_u64_u32 v[31:32], s[14:15], s21, v24, v[22:23]
	v_lshlrev_b64 v[11:12], 4, v[12:13]
	s_mov_b32 s26, 0x24c2f84
	v_add_co_u32_e32 v11, vcc, v25, v11
	v_addc_co_u32_e32 v12, vcc, v23, v12, vcc
	global_load_dwordx4 v[22:25], v[9:10], off
	global_load_dwordx4 v[26:29], v[11:12], off
	v_lshlrev_b64 v[9:10], 4, v[30:31]
	v_add_u32_e32 v30, 0x444, v0
	v_mul_u32_u24_e32 v31, 0xc1f, v30
	v_lshrrev_b32_e32 v32, 19, v31
	v_mul_lo_u16_e32 v31, 0xa9, v32
	v_mul_lo_u32 v12, s23, v33
	v_sub_u16_e32 v33, v30, v31
	v_mad_u64_u32 v[30:31], s[14:15], s20, v33, 0
	v_mov_b32_e32 v11, s12
	v_add_co_u32_e32 v34, vcc, s10, v9
	v_addc_co_u32_e32 v35, vcc, v11, v10, vcc
	v_mov_b32_e32 v11, v31
	v_lshlrev_b64 v[9:10], 4, v[12:13]
	v_mad_u64_u32 v[11:12], s[14:15], s21, v33, v[11:12]
	v_mul_lo_u32 v12, s23, v32
	v_add_u32_e32 v32, 0x4e0, v0
	v_mul_u32_u24_e32 v33, 0xc1f, v32
	v_add_co_u32_e32 v9, vcc, v34, v9
	v_lshrrev_b32_e32 v34, 19, v33
	v_mul_lo_u16_e32 v33, 0xa9, v34
	v_addc_co_u32_e32 v10, vcc, v35, v10, vcc
	v_sub_u16_e32 v35, v32, v33
	v_mad_u64_u32 v[32:33], s[14:15], s20, v35, 0
	v_mov_b32_e32 v31, v11
	v_lshlrev_b64 v[30:31], 4, v[30:31]
	v_mov_b32_e32 v11, s12
	v_add_co_u32_e32 v36, vcc, s10, v30
	v_mov_b32_e32 v30, v33
	v_addc_co_u32_e32 v37, vcc, v11, v31, vcc
	v_mad_u64_u32 v[30:31], s[14:15], s21, v35, v[30:31]
	v_lshlrev_b64 v[11:12], 4, v[12:13]
	s_mov_b32 s17, 0xbfedeba7
	v_mov_b32_e32 v33, v30
	v_lshlrev_b64 v[30:31], 4, v[32:33]
	v_add_u32_e32 v32, 0x57c, v0
	v_mul_u32_u24_e32 v33, 0xc1f, v32
	v_add_co_u32_e32 v38, vcc, v36, v11
	v_lshrrev_b32_e32 v43, 19, v33
	v_addc_co_u32_e32 v39, vcc, v37, v12, vcc
	v_mul_lo_u32 v12, s23, v34
	v_mul_lo_u16_e32 v33, 0xa9, v43
	v_sub_u16_e32 v32, v32, v33
	v_mad_u64_u32 v[40:41], s[14:15], s20, v32, 0
	v_mov_b32_e32 v11, s12
	v_add_co_u32_e32 v33, vcc, s10, v30
	v_addc_co_u32_e32 v31, vcc, v11, v31, vcc
	v_lshlrev_b64 v[11:12], 4, v[12:13]
	v_mov_b32_e32 v30, v41
	v_add_co_u32_e32 v46, vcc, v33, v11
	v_mad_u64_u32 v[41:42], s[14:15], s21, v32, v[30:31]
	v_addc_co_u32_e32 v47, vcc, v31, v12, vcc
	global_load_dwordx4 v[30:33], v[9:10], off
	global_load_dwordx4 v[34:37], v[38:39], off
	v_add_u32_e32 v38, 0x618, v0
	v_mul_u32_u24_e32 v39, 0xc1f, v38
	v_lshrrev_b32_e32 v50, 19, v39
	v_mul_lo_u16_e32 v39, 0xa9, v50
	v_sub_u16_e32 v38, v38, v39
	v_mad_u64_u32 v[48:49], s[14:15], s20, v38, 0
	v_mul_lo_u32 v12, s23, v43
	v_lshlrev_b64 v[9:10], 4, v[40:41]
	v_mov_b32_e32 v11, s12
	v_add_co_u32_e32 v39, vcc, s10, v9
	v_addc_co_u32_e32 v40, vcc, v11, v10, vcc
	v_mov_b32_e32 v11, v49
	v_lshlrev_b64 v[9:10], 4, v[12:13]
	v_mad_u64_u32 v[11:12], s[14:15], s21, v38, v[11:12]
	v_add_co_u32_e32 v9, vcc, v39, v9
	v_addc_co_u32_e32 v10, vcc, v40, v10, vcc
	global_load_dwordx4 v[38:41], v[46:47], off
	global_load_dwordx4 v[42:45], v[9:10], off
	v_add_u32_e32 v46, 0x6b4, v0
	v_mov_b32_e32 v49, v11
	v_mul_u32_u24_e32 v47, 0xc1f, v46
	v_lshlrev_b64 v[9:10], 4, v[48:49]
	v_lshrrev_b32_e32 v48, 19, v47
	v_mul_lo_u16_e32 v47, 0xa9, v48
	v_sub_u16_e32 v49, v46, v47
	v_mad_u64_u32 v[46:47], s[14:15], s20, v49, 0
	v_mul_lo_u32 v12, s23, v50
	v_mov_b32_e32 v11, s12
	v_add_co_u32_e32 v50, vcc, s10, v9
	v_addc_co_u32_e32 v51, vcc, v11, v10, vcc
	v_mov_b32_e32 v11, v47
	v_lshlrev_b64 v[9:10], 4, v[12:13]
	v_mad_u64_u32 v[11:12], s[14:15], s21, v49, v[11:12]
	v_add_co_u32_e32 v54, vcc, v50, v9
	v_mov_b32_e32 v47, v11
	v_addc_co_u32_e32 v55, vcc, v51, v10, vcc
	v_lshlrev_b64 v[9:10], 4, v[46:47]
	v_add_u32_e32 v46, 0x750, v0
	v_mul_u32_u24_e32 v47, 0xc1f, v46
	v_mul_lo_u32 v12, s23, v48
	v_lshrrev_b32_e32 v48, 19, v47
	v_mul_lo_u16_e32 v47, 0xa9, v48
	v_sub_u16_e32 v49, v46, v47
	v_mad_u64_u32 v[46:47], s[14:15], s20, v49, 0
	v_mov_b32_e32 v11, s12
	v_add_co_u32_e32 v50, vcc, s10, v9
	v_addc_co_u32_e32 v51, vcc, v11, v10, vcc
	v_mov_b32_e32 v11, v47
	v_lshlrev_b64 v[9:10], 4, v[12:13]
	v_mad_u64_u32 v[11:12], s[14:15], s21, v49, v[11:12]
	v_add_co_u32_e32 v56, vcc, v50, v9
	v_mov_b32_e32 v47, v11
	v_mul_lo_u32 v12, s23, v48
	v_addc_co_u32_e32 v57, vcc, v51, v10, vcc
	v_lshlrev_b64 v[9:10], 4, v[46:47]
	v_mov_b32_e32 v11, s12
	v_add_co_u32_e32 v46, vcc, s10, v9
	v_addc_co_u32_e32 v11, vcc, v11, v10, vcc
	v_lshlrev_b64 v[9:10], 4, v[12:13]
	s_movk_i32 s12, 0xab
	v_add_co_u32_e32 v58, vcc, v46, v9
	v_addc_co_u32_e32 v59, vcc, v11, v10, vcc
	global_load_dwordx4 v[9:12], v[54:55], off
	global_load_dwordx4 v[46:49], v[56:57], off
	;; [unrolled: 1-line block ×3, first 2 shown]
	v_lshl_add_u32 v54, v0, 4, 0
	s_waitcnt vmcnt(12)
	ds_write_b128 v54, v[1:4]
	s_waitcnt vmcnt(11)
	ds_write_b128 v54, v[5:8] offset:2496
	s_waitcnt vmcnt(10)
	ds_write_b128 v54, v[14:17] offset:4992
	;; [unrolled: 2-line block ×8, first 2 shown]
	v_mul_u32_u24_e32 v1, 0x13b2, v0
	v_add_u32_sdwa v2, s4, v1 dst_sel:DWORD dst_unused:UNUSED_PAD src0_sel:DWORD src1_sel:WORD_1
	v_mul_lo_u16_sdwa v3, v2, s12 dst_sel:DWORD dst_unused:UNUSED_PAD src0_sel:BYTE_0 src1_sel:DWORD
	v_lshrrev_b16_e32 v3, 11, v3
	v_mul_lo_u16_e32 v3, 12, v3
	s_movk_i32 s10, 0xa9
	v_sub_u16_e32 v2, v2, v3
	v_mov_b32_e32 v3, 13
	v_mul_u32_u24_sdwa v2, v2, s10 dst_sel:DWORD dst_unused:UNUSED_PAD src0_sel:BYTE_0 src1_sel:DWORD
	v_mul_lo_u16_sdwa v1, v1, v3 dst_sel:DWORD dst_unused:UNUSED_PAD src0_sel:WORD_1 src1_sel:DWORD
	s_waitcnt vmcnt(3)
	ds_write_b128 v54, v[42:45] offset:22464
	s_waitcnt vmcnt(2)
	ds_write_b128 v54, v[9:12] offset:24960
	;; [unrolled: 2-line block ×4, first 2 shown]
	v_sub_u16_e32 v51, v0, v1
	v_lshlrev_b32_e32 v1, 4, v2
	v_add_u32_e32 v52, 0, v1
	v_lshlrev_b32_e32 v2, 4, v51
	v_add_u32_e32 v50, v52, v2
	s_waitcnt lgkmcnt(0)
	s_barrier
	v_add3_u32 v82, 0, v2, v1
	ds_read_b128 v[5:8], v50
	ds_read_b128 v[9:12], v82 offset:208
	ds_read_b128 v[14:17], v82 offset:416
	;; [unrolled: 1-line block ×9, first 2 shown]
	s_waitcnt lgkmcnt(8)
	v_add_f64 v[1:2], v[5:6], v[9:10]
	v_add_f64 v[3:4], v[7:8], v[11:12]
	ds_read_b128 v[57:60], v82 offset:2080
	ds_read_b128 v[18:21], v82 offset:2288
	;; [unrolled: 1-line block ×3, first 2 shown]
	s_mov_b32 s27, 0xbfe5384d
	s_waitcnt lgkmcnt(3)
	v_add_f64 v[28:29], v[30:31], v[34:35]
	s_mov_b32 s22, 0xe00740e9
	s_mov_b32 s20, 0x1ea71119
	v_add_f64 v[1:2], v[1:2], v[14:15]
	v_add_f64 v[3:4], v[3:4], v[16:17]
	s_waitcnt lgkmcnt(0)
	v_add_f64 v[65:66], v[9:10], v[61:62]
	v_add_f64 v[67:68], v[11:12], v[63:64]
	s_mov_b32 s12, 0xebaa3ed8
	s_mov_b32 s14, 0xb2365da1
	;; [unrolled: 1-line block ×4, first 2 shown]
	v_add_f64 v[1:2], v[1:2], v[24:25]
	v_add_f64 v[3:4], v[3:4], v[26:27]
	s_mov_b32 s21, 0x3fe22d96
	s_mov_b32 s13, 0x3fbedb7d
	;; [unrolled: 1-line block ×4, first 2 shown]
	v_add_f64 v[22:23], v[32:33], v[36:37]
	s_mov_b32 s44, s26
	v_add_f64 v[1:2], v[1:2], v[30:31]
	v_add_f64 v[3:4], v[3:4], v[32:33]
	v_add_f64 v[30:31], v[30:31], -v[34:35]
	v_add_f64 v[32:33], v[32:33], -v[36:37]
	s_mov_b32 s35, 0x3fefc445
	s_mov_b32 s34, s36
	;; [unrolled: 1-line block ×4, first 2 shown]
	v_add_f64 v[1:2], v[1:2], v[38:39]
	v_add_f64 v[3:4], v[3:4], v[40:41]
	v_mul_f64 v[117:118], v[30:31], s[16:17]
	v_mul_f64 v[115:116], v[32:33], s[16:17]
	s_mov_b32 s49, 0x3fedeba7
	s_mov_b32 s48, s16
	;; [unrolled: 1-line block ×4, first 2 shown]
	v_add_f64 v[1:2], v[1:2], v[46:47]
	v_add_f64 v[3:4], v[3:4], v[48:49]
	s_mov_b32 s43, 0x3fea55e2
	s_mov_b32 s42, s30
	s_movk_i32 s10, 0xd0
	s_barrier
	v_add_f64 v[1:2], v[1:2], v[53:54]
	v_add_f64 v[3:4], v[3:4], v[55:56]
	s_mul_i32 s4, s0, s4
	s_mul_i32 s6, s6, s33
	v_add_f64 v[1:2], v[1:2], v[42:43]
	v_add_f64 v[3:4], v[3:4], v[44:45]
	;; [unrolled: 1-line block ×5, first 2 shown]
	v_add_f64 v[40:41], v[40:41], -v[44:45]
	v_add_f64 v[44:45], v[46:47], v[53:54]
	v_add_f64 v[46:47], v[46:47], -v[53:54]
	v_add_f64 v[36:37], v[38:39], v[42:43]
	;; [unrolled: 2-line block ×3, first 2 shown]
	v_add_f64 v[3:4], v[3:4], v[59:60]
	v_add_f64 v[42:43], v[48:49], v[55:56]
	v_add_f64 v[48:49], v[48:49], -v[55:56]
	v_mul_f64 v[121:122], v[38:39], s[26:27]
	v_add_f64 v[1:2], v[1:2], v[18:19]
	v_add_f64 v[3:4], v[3:4], v[20:21]
	;; [unrolled: 1-line block ×4, first 2 shown]
	v_add_f64 v[61:62], v[9:10], -v[61:62]
	v_add_f64 v[63:64], v[11:12], -v[63:64]
	v_add_f64 v[11:12], v[14:15], v[18:19]
	v_add_f64 v[9:10], v[16:17], v[20:21]
	v_add_f64 v[14:15], v[14:15], -v[18:19]
	v_add_f64 v[16:17], v[16:17], -v[20:21]
	v_add_f64 v[20:21], v[24:25], v[57:58]
	v_add_f64 v[18:19], v[26:27], v[59:60]
	v_add_f64 v[24:25], v[24:25], -v[57:58]
	v_add_f64 v[26:27], v[26:27], -v[59:60]
	v_mul_f64 v[57:58], v[63:64], s[50:51]
	v_mul_f64 v[53:54], v[63:64], s[30:31]
	;; [unrolled: 1-line block ×8, first 2 shown]
	v_fma_f64 v[55:56], v[65:66], s[22:23], -v[57:58]
	v_fma_f64 v[57:58], v[65:66], s[22:23], v[57:58]
	v_fma_f64 v[69:70], v[65:66], s[20:21], -v[53:54]
	v_fma_f64 v[53:54], v[65:66], s[20:21], v[53:54]
	;; [unrolled: 2-line block ×6, first 2 shown]
	v_mul_f64 v[65:66], v[61:62], s[36:37]
	v_fma_f64 v[89:90], v[67:68], s[22:23], v[83:84]
	v_mul_f64 v[91:92], v[61:62], s[16:17]
	v_mul_f64 v[93:94], v[61:62], s[26:27]
	;; [unrolled: 1-line block ×3, first 2 shown]
	v_fma_f64 v[95:96], v[67:68], s[20:21], v[87:88]
	v_fma_f64 v[83:84], v[67:68], s[22:23], -v[83:84]
	v_fma_f64 v[87:88], v[67:68], s[20:21], -v[87:88]
	v_fma_f64 v[97:98], v[67:68], s[12:13], v[65:66]
	v_fma_f64 v[65:66], v[67:68], s[12:13], -v[65:66]
	v_fma_f64 v[99:100], v[67:68], s[14:15], v[91:92]
	;; [unrolled: 2-line block ×4, first 2 shown]
	v_fma_f64 v[61:62], v[67:68], s[28:29], -v[61:62]
	v_add_f64 v[67:68], v[7:8], v[89:90]
	v_add_f64 v[89:90], v[7:8], v[95:96]
	v_mul_f64 v[95:96], v[16:17], s[30:31]
	v_mul_f64 v[105:106], v[14:15], s[30:31]
	v_add_f64 v[55:56], v[5:6], v[55:56]
	v_add_f64 v[107:108], v[5:6], v[59:60]
	v_mul_f64 v[111:112], v[26:27], s[36:37]
	v_mul_f64 v[113:114], v[24:25], s[36:37]
	v_add_f64 v[119:120], v[5:6], v[75:76]
	v_fma_f64 v[75:76], v[22:23], s[14:15], v[117:118]
	v_fma_f64 v[59:60], v[11:12], s[20:21], -v[95:96]
	v_fma_f64 v[109:110], v[9:10], s[20:21], v[105:106]
	v_add_f64 v[57:58], v[5:6], v[57:58]
	v_add_f64 v[83:84], v[7:8], v[83:84]
	;; [unrolled: 1-line block ×8, first 2 shown]
	v_fma_f64 v[67:68], v[20:21], s[12:13], -v[111:112]
	v_fma_f64 v[109:110], v[18:19], s[12:13], v[113:114]
	v_add_f64 v[97:98], v[7:8], v[97:98]
	v_add_f64 v[65:66], v[7:8], v[65:66]
	;; [unrolled: 1-line block ×8, first 2 shown]
	v_fma_f64 v[67:68], v[28:29], s[14:15], -v[115:116]
	v_mul_f64 v[109:110], v[40:41], s[26:27]
	v_add_f64 v[79:80], v[5:6], v[79:80]
	v_add_f64 v[101:102], v[7:8], v[101:102]
	;; [unrolled: 1-line block ×7, first 2 shown]
	v_fma_f64 v[5:6], v[11:12], s[20:21], v[95:96]
	v_fma_f64 v[7:8], v[9:10], s[20:21], -v[105:106]
	v_add_f64 v[55:56], v[67:68], v[55:56]
	v_add_f64 v[59:60], v[75:76], v[59:60]
	v_fma_f64 v[61:62], v[36:37], s[24:25], -v[109:110]
	v_fma_f64 v[63:64], v[34:35], s[24:25], v[121:122]
	v_mul_f64 v[67:68], v[48:49], s[40:41]
	v_mul_f64 v[75:76], v[46:47], s[40:41]
	v_add_f64 v[5:6], v[5:6], v[57:58]
	v_add_f64 v[7:8], v[7:8], v[83:84]
	v_fma_f64 v[57:58], v[20:21], s[12:13], v[111:112]
	v_fma_f64 v[83:84], v[18:19], s[12:13], -v[113:114]
	v_add_f64 v[55:56], v[61:62], v[55:56]
	v_add_f64 v[59:60], v[63:64], v[59:60]
	v_fma_f64 v[61:62], v[44:45], s[28:29], -v[67:68]
	v_fma_f64 v[63:64], v[42:43], s[28:29], v[75:76]
	v_mul_f64 v[95:96], v[16:17], s[16:17]
	v_mul_f64 v[105:106], v[14:15], s[16:17]
	v_add_f64 v[57:58], v[57:58], v[5:6]
	v_add_f64 v[83:84], v[83:84], v[7:8]
	;; [unrolled: 10-line block ×4, first 2 shown]
	v_mul_f64 v[109:110], v[40:41], s[34:35]
	v_mul_f64 v[111:112], v[38:39], s[34:35]
	v_add_f64 v[55:56], v[69:70], v[55:56]
	v_add_f64 v[59:60], v[89:90], v[59:60]
	v_fma_f64 v[69:70], v[28:29], s[24:25], -v[113:114]
	v_fma_f64 v[89:90], v[22:23], s[24:25], v[115:116]
	v_fma_f64 v[67:68], v[44:45], s[28:29], v[67:68]
	v_fma_f64 v[75:76], v[42:43], s[28:29], -v[75:76]
	v_fma_f64 v[61:62], v[20:21], s[28:29], v[61:62]
	v_fma_f64 v[63:64], v[18:19], s[28:29], -v[63:64]
	v_add_f64 v[55:56], v[69:70], v[55:56]
	v_add_f64 v[59:60], v[89:90], v[59:60]
	v_fma_f64 v[69:70], v[36:37], s[12:13], -v[109:110]
	v_fma_f64 v[89:90], v[34:35], s[12:13], v[111:112]
	v_add_f64 v[69:70], v[69:70], v[55:56]
	v_add_f64 v[59:60], v[89:90], v[59:60]
	v_fma_f64 v[55:56], v[11:12], s[14:15], v[95:96]
	v_mul_f64 v[89:90], v[48:49], s[38:39]
	v_fma_f64 v[95:96], v[9:10], s[14:15], -v[105:106]
	v_mul_f64 v[105:106], v[46:47], s[38:39]
	v_add_f64 v[117:118], v[55:56], v[53:54]
	v_fma_f64 v[121:122], v[44:45], s[22:23], -v[89:90]
	v_add_f64 v[87:88], v[95:96], v[87:88]
	v_fma_f64 v[95:96], v[42:43], s[22:23], v[105:106]
	v_add_f64 v[53:54], v[67:68], v[57:58]
	v_add_f64 v[55:56], v[75:76], v[83:84]
	v_mul_f64 v[67:68], v[16:17], s[40:41]
	v_mul_f64 v[75:76], v[14:15], s[40:41]
	v_add_f64 v[61:62], v[61:62], v[117:118]
	v_add_f64 v[57:58], v[121:122], v[69:70]
	;; [unrolled: 1-line block ×4, first 2 shown]
	v_fma_f64 v[69:70], v[28:29], s[24:25], v[113:114]
	v_fma_f64 v[83:84], v[22:23], s[24:25], -v[115:116]
	v_fma_f64 v[87:88], v[11:12], s[28:29], -v[67:68]
	v_fma_f64 v[95:96], v[9:10], s[28:29], v[75:76]
	v_mul_f64 v[113:114], v[26:27], s[48:49]
	v_mul_f64 v[115:116], v[24:25], s[48:49]
	v_fma_f64 v[67:68], v[11:12], s[28:29], v[67:68]
	v_mul_f64 v[117:118], v[38:39], s[46:47]
	v_add_f64 v[61:62], v[69:70], v[61:62]
	v_add_f64 v[63:64], v[83:84], v[63:64]
	v_fma_f64 v[69:70], v[36:37], s[12:13], v[109:110]
	v_fma_f64 v[83:84], v[34:35], s[12:13], -v[111:112]
	v_add_f64 v[71:72], v[87:88], v[71:72]
	v_add_f64 v[87:88], v[95:96], v[97:98]
	v_fma_f64 v[95:96], v[20:21], s[14:15], -v[113:114]
	v_fma_f64 v[97:98], v[18:19], s[14:15], v[115:116]
	v_mul_f64 v[109:110], v[32:33], s[38:39]
	v_mul_f64 v[111:112], v[30:31], s[38:39]
	v_add_f64 v[61:62], v[69:70], v[61:62]
	v_add_f64 v[63:64], v[83:84], v[63:64]
	v_fma_f64 v[69:70], v[44:45], s[22:23], v[89:90]
	v_fma_f64 v[83:84], v[42:43], s[22:23], -v[105:106]
	v_add_f64 v[71:72], v[95:96], v[71:72]
	v_add_f64 v[87:88], v[97:98], v[87:88]
	v_fma_f64 v[89:90], v[28:29], s[22:23], -v[109:110]
	v_fma_f64 v[95:96], v[22:23], s[22:23], v[111:112]
	v_mul_f64 v[97:98], v[40:41], s[30:31]
	v_mul_f64 v[105:106], v[38:39], s[30:31]
	v_add_f64 v[61:62], v[69:70], v[61:62]
	v_add_f64 v[63:64], v[83:84], v[63:64]
	v_fma_f64 v[69:70], v[9:10], s[28:29], -v[75:76]
	v_add_f64 v[67:68], v[67:68], v[107:108]
	v_add_f64 v[71:72], v[89:90], v[71:72]
	;; [unrolled: 1-line block ×3, first 2 shown]
	v_fma_f64 v[83:84], v[36:37], s[20:21], -v[97:98]
	v_fma_f64 v[87:88], v[34:35], s[20:21], v[105:106]
	v_mul_f64 v[89:90], v[48:49], s[26:27]
	v_mul_f64 v[95:96], v[46:47], s[26:27]
	v_add_f64 v[65:66], v[69:70], v[65:66]
	v_fma_f64 v[69:70], v[20:21], s[14:15], v[113:114]
	v_fma_f64 v[107:108], v[18:19], s[14:15], -v[115:116]
	v_mul_f64 v[113:114], v[16:17], s[44:45]
	v_add_f64 v[71:72], v[83:84], v[71:72]
	v_add_f64 v[75:76], v[87:88], v[75:76]
	v_fma_f64 v[83:84], v[44:45], s[24:25], -v[89:90]
	v_fma_f64 v[87:88], v[42:43], s[24:25], v[95:96]
	v_mul_f64 v[115:116], v[14:15], s[44:45]
	v_add_f64 v[69:70], v[69:70], v[67:68]
	v_add_f64 v[107:108], v[107:108], v[65:66]
	v_fma_f64 v[109:110], v[28:29], s[22:23], v[109:110]
	v_fma_f64 v[111:112], v[22:23], s[22:23], -v[111:112]
	v_fma_f64 v[97:98], v[36:37], s[20:21], v[97:98]
	v_add_f64 v[65:66], v[83:84], v[71:72]
	v_add_f64 v[67:68], v[87:88], v[75:76]
	v_fma_f64 v[71:72], v[11:12], s[24:25], -v[113:114]
	v_fma_f64 v[75:76], v[9:10], s[24:25], v[115:116]
	v_mul_f64 v[83:84], v[26:27], s[38:39]
	v_mul_f64 v[87:88], v[24:25], s[38:39]
	v_add_f64 v[69:70], v[109:110], v[69:70]
	v_add_f64 v[107:108], v[111:112], v[107:108]
	v_fma_f64 v[105:106], v[34:35], s[20:21], -v[105:106]
	v_mul_f64 v[109:110], v[32:33], s[36:37]
	v_add_f64 v[71:72], v[71:72], v[77:78]
	v_add_f64 v[75:76], v[75:76], v[99:100]
	v_fma_f64 v[77:78], v[20:21], s[22:23], -v[83:84]
	v_fma_f64 v[99:100], v[18:19], s[22:23], v[87:88]
	v_mul_f64 v[111:112], v[30:31], s[36:37]
	v_add_f64 v[69:70], v[97:98], v[69:70]
	v_add_f64 v[97:98], v[105:106], v[107:108]
	v_fma_f64 v[89:90], v[44:45], s[24:25], v[89:90]
	v_fma_f64 v[95:96], v[42:43], s[24:25], -v[95:96]
	v_mul_f64 v[107:108], v[40:41], s[46:47]
	v_add_f64 v[77:78], v[77:78], v[71:72]
	v_add_f64 v[75:76], v[99:100], v[75:76]
	v_fma_f64 v[99:100], v[28:29], s[12:13], -v[109:110]
	v_fma_f64 v[105:106], v[22:23], s[12:13], v[111:112]
	v_fma_f64 v[83:84], v[20:21], s[22:23], v[83:84]
	v_add_f64 v[69:70], v[89:90], v[69:70]
	v_add_f64 v[71:72], v[95:96], v[97:98]
	v_fma_f64 v[89:90], v[11:12], s[24:25], v[113:114]
	v_fma_f64 v[95:96], v[9:10], s[24:25], -v[115:116]
	v_fma_f64 v[97:98], v[36:37], s[28:29], -v[107:108]
	v_add_f64 v[77:78], v[99:100], v[77:78]
	v_add_f64 v[75:76], v[105:106], v[75:76]
	v_fma_f64 v[99:100], v[34:35], s[28:29], v[117:118]
	v_mul_f64 v[105:106], v[48:49], s[42:43]
	v_mul_f64 v[113:114], v[46:47], s[42:43]
	v_add_f64 v[73:74], v[89:90], v[73:74]
	v_add_f64 v[89:90], v[95:96], v[91:92]
	v_fma_f64 v[87:88], v[18:19], s[22:23], -v[87:88]
	v_add_f64 v[77:78], v[97:98], v[77:78]
	v_mul_f64 v[97:98], v[16:17], s[34:35]
	v_add_f64 v[75:76], v[99:100], v[75:76]
	v_fma_f64 v[91:92], v[44:45], s[20:21], -v[105:106]
	v_fma_f64 v[95:96], v[42:43], s[20:21], v[113:114]
	v_mul_f64 v[99:100], v[14:15], s[34:35]
	v_add_f64 v[83:84], v[83:84], v[73:74]
	v_add_f64 v[87:88], v[87:88], v[89:90]
	v_fma_f64 v[89:90], v[28:29], s[12:13], v[109:110]
	v_fma_f64 v[109:110], v[22:23], s[12:13], -v[111:112]
	v_mul_f64 v[111:112], v[24:25], s[30:31]
	v_add_f64 v[73:74], v[91:92], v[77:78]
	v_add_f64 v[75:76], v[95:96], v[75:76]
	v_fma_f64 v[77:78], v[11:12], s[12:13], -v[97:98]
	v_fma_f64 v[91:92], v[9:10], s[12:13], v[99:100]
	v_mul_f64 v[95:96], v[26:27], s[30:31]
	v_add_f64 v[83:84], v[89:90], v[83:84]
	v_add_f64 v[87:88], v[109:110], v[87:88]
	v_fma_f64 v[89:90], v[36:37], s[28:29], v[107:108]
	v_fma_f64 v[107:108], v[34:35], s[28:29], -v[117:118]
	v_mul_f64 v[109:110], v[32:33], s[46:47]
	v_add_f64 v[77:78], v[77:78], v[79:80]
	v_add_f64 v[79:80], v[91:92], v[101:102]
	v_fma_f64 v[91:92], v[20:21], s[20:21], -v[95:96]
	v_fma_f64 v[101:102], v[18:19], s[20:21], v[111:112]
	v_mul_f64 v[115:116], v[30:31], s[46:47]
	v_add_f64 v[83:84], v[89:90], v[83:84]
	v_add_f64 v[87:88], v[107:108], v[87:88]
	v_fma_f64 v[89:90], v[28:29], s[28:29], -v[109:110]
	v_fma_f64 v[105:106], v[44:45], s[20:21], v[105:106]
	v_fma_f64 v[113:114], v[42:43], s[20:21], -v[113:114]
	v_add_f64 v[77:78], v[91:92], v[77:78]
	v_add_f64 v[79:80], v[101:102], v[79:80]
	v_fma_f64 v[91:92], v[22:23], s[28:29], v[115:116]
	v_fma_f64 v[97:98], v[11:12], s[12:13], v[97:98]
	v_fma_f64 v[99:100], v[9:10], s[12:13], -v[99:100]
	v_mul_f64 v[16:17], v[16:17], s[38:39]
	v_mul_f64 v[14:15], v[14:15], s[38:39]
	;; [unrolled: 1-line block ×3, first 2 shown]
	v_add_f64 v[89:90], v[89:90], v[77:78]
	v_add_f64 v[77:78], v[105:106], v[83:84]
	;; [unrolled: 1-line block ×6, first 2 shown]
	v_fma_f64 v[93:94], v[20:21], s[20:21], v[95:96]
	v_fma_f64 v[95:96], v[18:19], s[20:21], -v[111:112]
	v_fma_f64 v[111:112], v[11:12], s[22:23], -v[16:17]
	v_fma_f64 v[113:114], v[9:10], s[22:23], v[14:15]
	v_mul_f64 v[26:27], v[26:27], s[26:27]
	v_mul_f64 v[24:25], v[24:25], s[26:27]
	v_fma_f64 v[11:12], v[11:12], s[22:23], v[16:17]
	v_fma_f64 v[9:10], v[9:10], s[22:23], -v[14:15]
	v_add_f64 v[83:84], v[93:94], v[83:84]
	v_add_f64 v[87:88], v[95:96], v[87:88]
	v_fma_f64 v[93:94], v[28:29], s[28:29], v[109:110]
	v_fma_f64 v[95:96], v[22:23], s[28:29], -v[115:116]
	v_fma_f64 v[117:118], v[36:37], s[22:23], -v[101:102]
	v_fma_f64 v[16:17], v[36:37], s[22:23], v[101:102]
	v_add_f64 v[85:86], v[111:112], v[85:86]
	v_fma_f64 v[101:102], v[18:19], s[24:25], v[24:25]
	v_mul_f64 v[14:15], v[32:33], s[42:43]
	v_add_f64 v[11:12], v[11:12], v[123:124]
	v_add_f64 v[83:84], v[93:94], v[83:84]
	;; [unrolled: 1-line block ×4, first 2 shown]
	v_fma_f64 v[95:96], v[20:21], s[24:25], -v[26:27]
	v_mul_f64 v[30:31], v[30:31], s[42:43]
	v_fma_f64 v[20:21], v[20:21], s[24:25], v[26:27]
	v_add_f64 v[9:10], v[9:10], v[125:126]
	v_fma_f64 v[18:19], v[18:19], s[24:25], -v[24:25]
	v_mul_f64 v[107:108], v[38:39], s[38:39]
	v_add_f64 v[16:17], v[16:17], v[83:84]
	v_add_f64 v[32:33], v[101:102], v[93:94]
	;; [unrolled: 1-line block ×3, first 2 shown]
	v_fma_f64 v[24:25], v[28:29], s[20:21], -v[14:15]
	v_fma_f64 v[83:84], v[22:23], s[20:21], v[30:31]
	v_add_f64 v[11:12], v[20:21], v[11:12]
	v_mul_f64 v[20:21], v[40:41], s[16:17]
	v_fma_f64 v[14:15], v[28:29], s[20:21], v[14:15]
	v_mul_f64 v[28:29], v[38:39], s[16:17]
	v_add_f64 v[9:10], v[18:19], v[9:10]
	v_fma_f64 v[18:19], v[22:23], s[20:21], -v[30:31]
	v_fma_f64 v[121:122], v[34:35], s[22:23], v[107:108]
	v_mul_f64 v[97:98], v[48:49], s[16:17]
	v_mul_f64 v[99:100], v[46:47], s[16:17]
	v_fma_f64 v[38:39], v[34:35], s[22:23], -v[107:108]
	v_add_f64 v[22:23], v[24:25], v[26:27]
	v_add_f64 v[24:25], v[83:84], v[32:33]
	v_fma_f64 v[26:27], v[36:37], s[14:15], -v[20:21]
	v_add_f64 v[11:12], v[14:15], v[11:12]
	v_fma_f64 v[14:15], v[34:35], s[14:15], v[28:29]
	v_fma_f64 v[20:21], v[36:37], s[14:15], v[20:21]
	v_add_f64 v[9:10], v[18:19], v[9:10]
	v_fma_f64 v[18:19], v[34:35], s[14:15], -v[28:29]
	v_mul_f64 v[28:29], v[48:49], s[34:35]
	v_mul_f64 v[32:33], v[46:47], s[34:35]
	v_add_f64 v[89:90], v[117:118], v[89:90]
	v_add_f64 v[91:92], v[121:122], v[91:92]
	v_fma_f64 v[105:106], v[44:45], s[14:15], -v[97:98]
	v_fma_f64 v[109:110], v[42:43], s[14:15], v[99:100]
	v_add_f64 v[30:31], v[38:39], v[87:88]
	v_add_f64 v[22:23], v[26:27], v[22:23]
	;; [unrolled: 1-line block ×4, first 2 shown]
	v_fma_f64 v[14:15], v[44:45], s[14:15], v[97:98]
	v_fma_f64 v[20:21], v[42:43], s[14:15], -v[99:100]
	v_add_f64 v[34:35], v[18:19], v[9:10]
	v_fma_f64 v[18:19], v[44:45], s[12:13], -v[28:29]
	v_fma_f64 v[36:37], v[42:43], s[12:13], v[32:33]
	v_fma_f64 v[28:29], v[44:45], s[12:13], v[28:29]
	v_fma_f64 v[32:33], v[42:43], s[12:13], -v[32:33]
	v_add_f64 v[9:10], v[105:106], v[89:90]
	v_add_f64 v[11:12], v[109:110], v[91:92]
	;; [unrolled: 1-line block ×8, first 2 shown]
	v_mad_u32_u24 v26, v51, s10, v52
	ds_write_b128 v26, v[1:4]
	ds_write_b128 v26, v[5:8] offset:16
	ds_write_b128 v26, v[57:60] offset:32
	;; [unrolled: 1-line block ×12, first 2 shown]
	v_mul_u32_u24_e32 v1, 12, v51
	v_lshlrev_b32_e32 v51, 4, v1
	s_waitcnt lgkmcnt(0)
	s_barrier
	global_load_dwordx4 v[1:4], v51, s[8:9]
	global_load_dwordx4 v[5:8], v51, s[8:9] offset:16
	global_load_dwordx4 v[9:12], v51, s[8:9] offset:32
	global_load_dwordx4 v[14:17], v51, s[8:9] offset:48
	global_load_dwordx4 v[18:21], v51, s[8:9] offset:64
	global_load_dwordx4 v[22:25], v51, s[8:9] offset:80
	global_load_dwordx4 v[26:29], v51, s[8:9] offset:96
	global_load_dwordx4 v[30:33], v51, s[8:9] offset:112
	global_load_dwordx4 v[34:37], v51, s[8:9] offset:128
	global_load_dwordx4 v[38:41], v51, s[8:9] offset:144
	ds_read_b128 v[42:45], v82 offset:208
	global_load_dwordx4 v[46:49], v51, s[8:9] offset:160
	s_nop 0
	global_load_dwordx4 v[51:54], v51, s[8:9] offset:176
	ds_read_b128 v[68:71], v50
	ds_read_b128 v[55:58], v82 offset:416
	ds_read_b128 v[59:62], v82 offset:624
	s_mul_i32 s10, s52, s3
	s_waitcnt vmcnt(11) lgkmcnt(3)
	v_mul_f64 v[63:64], v[44:45], v[3:4]
	v_mul_f64 v[3:4], v[42:43], v[3:4]
	s_waitcnt vmcnt(10) lgkmcnt(1)
	v_mul_f64 v[65:66], v[57:58], v[7:8]
	v_mul_f64 v[7:8], v[55:56], v[7:8]
	v_fma_f64 v[42:43], v[42:43], v[1:2], -v[63:64]
	v_fma_f64 v[44:45], v[44:45], v[1:2], v[3:4]
	ds_read_b128 v[1:4], v82 offset:832
	s_waitcnt vmcnt(9) lgkmcnt(1)
	v_mul_f64 v[63:64], v[61:62], v[11:12]
	v_mul_f64 v[11:12], v[59:60], v[11:12]
	v_fma_f64 v[55:56], v[55:56], v[5:6], -v[65:66]
	v_fma_f64 v[57:58], v[57:58], v[5:6], v[7:8]
	s_waitcnt vmcnt(8) lgkmcnt(0)
	v_mul_f64 v[74:75], v[3:4], v[16:17]
	v_add_f64 v[65:66], v[68:69], v[42:43]
	v_add_f64 v[72:73], v[70:71], v[44:45]
	v_mul_f64 v[16:17], v[1:2], v[16:17]
	v_fma_f64 v[59:60], v[59:60], v[9:10], -v[63:64]
	v_fma_f64 v[76:77], v[61:62], v[9:10], v[11:12]
	ds_read_b128 v[5:8], v82 offset:1040
	ds_read_b128 v[9:12], v82 offset:1248
	v_add_f64 v[61:62], v[65:66], v[55:56]
	v_add_f64 v[63:64], v[72:73], v[57:58]
	s_waitcnt vmcnt(7) lgkmcnt(1)
	v_mul_f64 v[65:66], v[7:8], v[20:21]
	v_mul_f64 v[20:21], v[5:6], v[20:21]
	v_fma_f64 v[72:73], v[1:2], v[14:15], -v[74:75]
	v_fma_f64 v[74:75], v[3:4], v[14:15], v[16:17]
	ds_read_b128 v[1:4], v82 offset:1456
	v_add_f64 v[14:15], v[61:62], v[59:60]
	v_add_f64 v[16:17], v[63:64], v[76:77]
	s_waitcnt vmcnt(6) lgkmcnt(1)
	v_mul_f64 v[61:62], v[11:12], v[24:25]
	v_fma_f64 v[83:84], v[5:6], v[18:19], -v[65:66]
	v_fma_f64 v[85:86], v[7:8], v[18:19], v[20:21]
	v_mul_f64 v[7:8], v[9:10], v[24:25]
	v_add_f64 v[18:19], v[14:15], v[72:73]
	v_add_f64 v[20:21], v[16:17], v[74:75]
	ds_read_b128 v[14:17], v82 offset:1664
	v_fma_f64 v[5:6], v[9:10], v[22:23], -v[61:62]
	s_waitcnt vmcnt(5) lgkmcnt(1)
	v_mul_f64 v[9:10], v[3:4], v[28:29]
	v_fma_f64 v[7:8], v[11:12], v[22:23], v[7:8]
	v_mul_f64 v[24:25], v[1:2], v[28:29]
	s_waitcnt vmcnt(4) lgkmcnt(0)
	v_mul_f64 v[28:29], v[16:17], v[32:33]
	v_add_f64 v[11:12], v[18:19], v[83:84]
	v_add_f64 v[22:23], v[20:21], v[85:86]
	ds_read_b128 v[18:21], v82 offset:1872
	v_fma_f64 v[9:10], v[1:2], v[26:27], -v[9:10]
	v_fma_f64 v[87:88], v[3:4], v[26:27], v[24:25]
	ds_read_b128 v[1:4], v82 offset:2080
	v_add_f64 v[11:12], v[11:12], v[5:6]
	v_mul_f64 v[24:25], v[14:15], v[32:33]
	v_add_f64 v[22:23], v[22:23], v[7:8]
	v_fma_f64 v[89:90], v[14:15], v[30:31], -v[28:29]
	s_waitcnt vmcnt(3) lgkmcnt(1)
	v_mul_f64 v[26:27], v[20:21], v[36:37]
	v_mul_f64 v[28:29], v[18:19], v[36:37]
	v_add_f64 v[11:12], v[11:12], v[9:10]
	v_fma_f64 v[91:92], v[16:17], v[30:31], v[24:25]
	v_add_f64 v[22:23], v[22:23], v[87:88]
	s_waitcnt vmcnt(2) lgkmcnt(0)
	v_mul_f64 v[24:25], v[3:4], v[40:41]
	v_fma_f64 v[32:33], v[18:19], v[34:35], -v[26:27]
	v_mul_f64 v[26:27], v[1:2], v[40:41]
	ds_read_b128 v[14:17], v82 offset:2288
	v_fma_f64 v[30:31], v[20:21], v[34:35], v[28:29]
	ds_read_b128 v[18:21], v82 offset:2496
	v_add_f64 v[11:12], v[11:12], v[89:90]
	v_add_f64 v[22:23], v[22:23], v[91:92]
	v_fma_f64 v[24:25], v[1:2], v[38:39], -v[24:25]
	s_waitcnt vmcnt(1) lgkmcnt(1)
	v_mul_f64 v[1:2], v[16:17], v[48:49]
	v_fma_f64 v[34:35], v[3:4], v[38:39], v[26:27]
	s_waitcnt vmcnt(0) lgkmcnt(0)
	v_mul_f64 v[3:4], v[18:19], v[53:54]
	v_mul_f64 v[26:27], v[14:15], v[48:49]
	v_add_f64 v[11:12], v[11:12], v[32:33]
	v_add_f64 v[22:23], v[22:23], v[30:31]
	s_barrier
	v_fma_f64 v[28:29], v[14:15], v[46:47], -v[1:2]
	v_mul_f64 v[1:2], v[20:21], v[53:54]
	v_fma_f64 v[14:15], v[20:21], v[51:52], v[3:4]
	v_fma_f64 v[16:17], v[16:17], v[46:47], v[26:27]
	v_add_f64 v[3:4], v[11:12], v[24:25]
	v_add_f64 v[11:12], v[22:23], v[34:35]
	v_fma_f64 v[18:19], v[18:19], v[51:52], -v[1:2]
	v_add_f64 v[20:21], v[44:45], -v[14:15]
	v_add_f64 v[1:2], v[3:4], v[28:29]
	v_add_f64 v[3:4], v[11:12], v[16:17]
	;; [unrolled: 1-line block ×3, first 2 shown]
	v_mul_f64 v[22:23], v[20:21], s[50:51]
	v_mul_f64 v[26:27], v[20:21], s[30:31]
	;; [unrolled: 1-line block ×3, first 2 shown]
	v_add_f64 v[1:2], v[1:2], v[18:19]
	v_add_f64 v[18:19], v[42:43], -v[18:19]
	v_mul_f64 v[40:41], v[20:21], s[16:17]
	v_mul_f64 v[42:43], v[20:21], s[26:27]
	;; [unrolled: 1-line block ×3, first 2 shown]
	v_add_f64 v[3:4], v[3:4], v[14:15]
	v_add_f64 v[14:15], v[44:45], v[14:15]
	v_fma_f64 v[38:39], v[11:12], s[22:23], -v[22:23]
	v_fma_f64 v[22:23], v[11:12], s[22:23], v[22:23]
	v_fma_f64 v[44:45], v[11:12], s[20:21], -v[26:27]
	v_fma_f64 v[26:27], v[11:12], s[20:21], v[26:27]
	v_fma_f64 v[46:47], v[11:12], s[12:13], -v[36:37]
	v_fma_f64 v[36:37], v[11:12], s[12:13], v[36:37]
	v_fma_f64 v[48:49], v[11:12], s[14:15], -v[40:41]
	v_mul_f64 v[50:51], v[18:19], s[50:51]
	v_fma_f64 v[40:41], v[11:12], s[14:15], v[40:41]
	v_fma_f64 v[52:53], v[11:12], s[24:25], -v[42:43]
	v_fma_f64 v[66:67], v[11:12], s[24:25], v[42:43]
	v_fma_f64 v[93:94], v[11:12], s[28:29], -v[20:21]
	v_mul_f64 v[42:43], v[18:19], s[30:31]
	v_fma_f64 v[11:12], v[11:12], s[28:29], v[20:21]
	v_mul_f64 v[20:21], v[18:19], s[36:37]
	v_mul_f64 v[63:64], v[18:19], s[16:17]
	;; [unrolled: 1-line block ×4, first 2 shown]
	v_fma_f64 v[61:62], v[14:15], s[22:23], v[50:51]
	v_fma_f64 v[50:51], v[14:15], s[22:23], -v[50:51]
	v_fma_f64 v[80:81], v[14:15], s[20:21], v[42:43]
	v_fma_f64 v[42:43], v[14:15], s[20:21], -v[42:43]
	;; [unrolled: 2-line block ×3, first 2 shown]
	v_fma_f64 v[99:100], v[14:15], s[14:15], v[63:64]
	v_fma_f64 v[107:108], v[14:15], s[28:29], v[18:19]
	v_fma_f64 v[109:110], v[14:15], s[28:29], -v[18:19]
	v_add_f64 v[20:21], v[57:58], -v[16:17]
	v_add_f64 v[18:19], v[55:56], -v[28:29]
	v_fma_f64 v[101:102], v[14:15], s[14:15], -v[63:64]
	v_fma_f64 v[103:104], v[14:15], s[24:25], v[78:79]
	v_fma_f64 v[105:106], v[14:15], s[24:25], -v[78:79]
	v_add_f64 v[113:114], v[70:71], v[61:62]
	v_add_f64 v[123:124], v[68:69], v[26:27]
	;; [unrolled: 1-line block ×6, first 2 shown]
	v_mul_f64 v[97:98], v[20:21], s[30:31]
	v_mul_f64 v[99:100], v[18:19], s[30:31]
	v_add_f64 v[28:29], v[76:77], -v[34:35]
	v_add_f64 v[26:27], v[59:60], -v[24:25]
	v_add_f64 v[111:112], v[68:69], v[38:39]
	v_add_f64 v[115:116], v[68:69], v[22:23]
	;; [unrolled: 1-line block ×12, first 2 shown]
	v_fma_f64 v[44:45], v[16:17], s[20:21], -v[97:98]
	v_fma_f64 v[48:49], v[14:15], s[20:21], v[99:100]
	v_add_f64 v[22:23], v[76:77], v[34:35]
	v_add_f64 v[24:25], v[59:60], v[24:25]
	v_mul_f64 v[101:102], v[28:29], s[36:37]
	v_mul_f64 v[103:104], v[26:27], s[36:37]
	v_add_f64 v[40:41], v[74:75], -v[30:31]
	v_add_f64 v[36:37], v[72:73], -v[32:33]
	v_add_f64 v[34:35], v[70:71], v[105:106]
	v_add_f64 v[44:45], v[44:45], v[111:112]
	;; [unrolled: 1-line block ×4, first 2 shown]
	v_fma_f64 v[54:55], v[24:25], s[12:13], -v[101:102]
	v_fma_f64 v[60:61], v[22:23], s[12:13], v[103:104]
	v_add_f64 v[32:33], v[72:73], v[32:33]
	v_mul_f64 v[105:106], v[40:41], s[16:17]
	v_mul_f64 v[111:112], v[36:37], s[16:17]
	v_add_f64 v[56:57], v[68:69], v[93:94]
	v_add_f64 v[58:59], v[85:86], -v[91:92]
	v_add_f64 v[52:53], v[68:69], v[52:53]
	v_add_f64 v[72:73], v[54:55], v[44:45]
	;; [unrolled: 1-line block ×3, first 2 shown]
	v_add_f64 v[54:55], v[83:84], -v[89:90]
	v_fma_f64 v[76:77], v[32:33], s[14:15], -v[105:106]
	v_fma_f64 v[93:94], v[30:31], s[14:15], v[111:112]
	v_add_f64 v[38:39], v[68:69], v[66:67]
	v_add_f64 v[48:49], v[83:84], v[89:90]
	v_mul_f64 v[83:84], v[58:59], s[26:27]
	v_add_f64 v[68:69], v[68:69], v[11:12]
	v_add_f64 v[44:45], v[85:86], v[91:92]
	v_mul_f64 v[85:86], v[54:55], s[26:27]
	v_fma_f64 v[11:12], v[16:17], s[20:21], v[97:98]
	v_add_f64 v[89:90], v[76:77], v[72:73]
	v_add_f64 v[91:92], v[93:94], v[74:75]
	v_add_f64 v[76:77], v[7:8], -v[87:88]
	v_add_f64 v[74:75], v[5:6], -v[9:10]
	v_add_f64 v[95:96], v[70:71], v[95:96]
	v_add_f64 v[66:67], v[70:71], v[107:108]
	;; [unrolled: 1-line block ×3, first 2 shown]
	v_fma_f64 v[93:94], v[48:49], s[24:25], -v[83:84]
	v_fma_f64 v[97:98], v[14:15], s[20:21], -v[99:100]
	v_fma_f64 v[99:100], v[44:45], s[24:25], v[85:86]
	v_add_f64 v[11:12], v[11:12], v[115:116]
	v_fma_f64 v[101:102], v[24:25], s[12:13], v[101:102]
	v_add_f64 v[70:71], v[7:8], v[87:88]
	v_add_f64 v[72:73], v[5:6], v[9:10]
	v_mul_f64 v[5:6], v[76:77], s[40:41]
	v_mul_f64 v[7:8], v[74:75], s[40:41]
	v_add_f64 v[9:10], v[97:98], v[117:118]
	v_fma_f64 v[87:88], v[22:23], s[12:13], -v[103:104]
	v_add_f64 v[89:90], v[93:94], v[89:90]
	v_add_f64 v[11:12], v[101:102], v[11:12]
	v_fma_f64 v[93:94], v[32:33], s[14:15], v[105:106]
	v_add_f64 v[91:92], v[99:100], v[91:92]
	v_fma_f64 v[97:98], v[72:73], s[28:29], -v[5:6]
	v_mul_f64 v[99:100], v[20:21], s[16:17]
	v_fma_f64 v[101:102], v[70:71], s[28:29], v[7:8]
	v_mul_f64 v[105:106], v[18:19], s[16:17]
	v_add_f64 v[87:88], v[87:88], v[9:10]
	v_fma_f64 v[103:104], v[30:31], s[14:15], -v[111:112]
	v_add_f64 v[93:94], v[93:94], v[11:12]
	v_fma_f64 v[83:84], v[48:49], s[24:25], v[83:84]
	v_add_f64 v[9:10], v[97:98], v[89:90]
	v_fma_f64 v[89:90], v[16:17], s[14:15], -v[99:100]
	v_mul_f64 v[97:98], v[28:29], s[40:41]
	v_add_f64 v[11:12], v[101:102], v[91:92]
	v_fma_f64 v[91:92], v[14:15], s[14:15], v[105:106]
	v_mul_f64 v[101:102], v[26:27], s[40:41]
	v_add_f64 v[87:88], v[103:104], v[87:88]
	v_add_f64 v[83:84], v[83:84], v[93:94]
	v_fma_f64 v[85:86], v[44:45], s[24:25], -v[85:86]
	v_add_f64 v[89:90], v[89:90], v[119:120]
	v_fma_f64 v[93:94], v[24:25], s[28:29], -v[97:98]
	v_mul_f64 v[103:104], v[40:41], s[44:45]
	v_fma_f64 v[5:6], v[72:73], s[28:29], v[5:6]
	v_add_f64 v[91:92], v[91:92], v[121:122]
	v_fma_f64 v[107:108], v[22:23], s[28:29], v[101:102]
	v_mul_f64 v[109:110], v[36:37], s[44:45]
	v_add_f64 v[85:86], v[85:86], v[87:88]
	v_fma_f64 v[7:8], v[70:71], s[28:29], -v[7:8]
	v_add_f64 v[87:88], v[93:94], v[89:90]
	v_fma_f64 v[89:90], v[32:33], s[24:25], -v[103:104]
	v_add_f64 v[5:6], v[5:6], v[83:84]
	v_fma_f64 v[83:84], v[16:17], s[14:15], v[99:100]
	v_add_f64 v[91:92], v[107:108], v[91:92]
	v_fma_f64 v[93:94], v[30:31], s[24:25], v[109:110]
	v_mul_f64 v[99:100], v[58:59], s[34:35]
	v_mul_f64 v[107:108], v[54:55], s[34:35]
	v_add_f64 v[7:8], v[7:8], v[85:86]
	v_add_f64 v[85:86], v[89:90], v[87:88]
	v_fma_f64 v[87:88], v[14:15], s[14:15], -v[105:106]
	v_add_f64 v[83:84], v[83:84], v[123:124]
	v_fma_f64 v[89:90], v[24:25], s[28:29], v[97:98]
	v_add_f64 v[91:92], v[93:94], v[91:92]
	v_fma_f64 v[93:94], v[48:49], s[12:13], -v[99:100]
	v_fma_f64 v[97:98], v[44:45], s[12:13], v[107:108]
	v_mul_f64 v[105:106], v[76:77], s[38:39]
	v_mul_f64 v[111:112], v[74:75], s[38:39]
	v_add_f64 v[87:88], v[87:88], v[125:126]
	v_fma_f64 v[101:102], v[22:23], s[28:29], -v[101:102]
	v_add_f64 v[83:84], v[89:90], v[83:84]
	v_fma_f64 v[89:90], v[32:33], s[24:25], v[103:104]
	v_add_f64 v[85:86], v[93:94], v[85:86]
	v_add_f64 v[91:92], v[97:98], v[91:92]
	v_fma_f64 v[93:94], v[72:73], s[22:23], -v[105:106]
	v_mul_f64 v[97:98], v[20:21], s[40:41]
	v_fma_f64 v[103:104], v[70:71], s[22:23], v[111:112]
	v_add_f64 v[87:88], v[101:102], v[87:88]
	v_fma_f64 v[101:102], v[30:31], s[24:25], -v[109:110]
	v_add_f64 v[89:90], v[89:90], v[83:84]
	v_fma_f64 v[99:100], v[48:49], s[12:13], v[99:100]
	v_mul_f64 v[109:110], v[18:19], s[40:41]
	v_add_f64 v[83:84], v[93:94], v[85:86]
	v_fma_f64 v[93:94], v[16:17], s[28:29], -v[97:98]
	v_mul_f64 v[113:114], v[28:29], s[48:49]
	v_add_f64 v[85:86], v[103:104], v[91:92]
	v_add_f64 v[87:88], v[101:102], v[87:88]
	v_fma_f64 v[91:92], v[44:45], s[12:13], -v[107:108]
	v_add_f64 v[89:90], v[99:100], v[89:90]
	v_fma_f64 v[99:100], v[14:15], s[28:29], v[109:110]
	v_mul_f64 v[101:102], v[26:27], s[48:49]
	v_add_f64 v[93:94], v[93:94], v[127:128]
	v_fma_f64 v[103:104], v[24:25], s[14:15], -v[113:114]
	v_mul_f64 v[107:108], v[40:41], s[38:39]
	v_fma_f64 v[105:106], v[72:73], s[22:23], v[105:106]
	v_add_f64 v[91:92], v[91:92], v[87:88]
	v_fma_f64 v[111:112], v[70:71], s[22:23], -v[111:112]
	v_add_f64 v[95:96], v[99:100], v[95:96]
	v_fma_f64 v[99:100], v[22:23], s[14:15], v[101:102]
	v_mul_f64 v[115:116], v[36:37], s[38:39]
	v_add_f64 v[93:94], v[103:104], v[93:94]
	v_fma_f64 v[103:104], v[32:33], s[22:23], -v[107:108]
	v_add_f64 v[87:88], v[105:106], v[89:90]
	v_mul_f64 v[105:106], v[58:59], s[30:31]
	v_add_f64 v[89:90], v[111:112], v[91:92]
	v_fma_f64 v[91:92], v[16:17], s[28:29], v[97:98]
	v_add_f64 v[95:96], v[99:100], v[95:96]
	v_fma_f64 v[97:98], v[30:31], s[22:23], v[115:116]
	v_mul_f64 v[99:100], v[54:55], s[30:31]
	v_add_f64 v[93:94], v[103:104], v[93:94]
	v_fma_f64 v[103:104], v[14:15], s[28:29], -v[109:110]
	v_fma_f64 v[109:110], v[48:49], s[20:21], -v[105:106]
	v_mul_f64 v[111:112], v[76:77], s[26:27]
	v_add_f64 v[80:81], v[91:92], v[80:81]
	v_fma_f64 v[91:92], v[24:25], s[14:15], v[113:114]
	v_add_f64 v[95:96], v[97:98], v[95:96]
	v_fma_f64 v[97:98], v[44:45], s[20:21], v[99:100]
	v_mul_f64 v[113:114], v[74:75], s[26:27]
	v_add_f64 v[78:79], v[103:104], v[78:79]
	v_fma_f64 v[101:102], v[22:23], s[14:15], -v[101:102]
	v_add_f64 v[93:94], v[109:110], v[93:94]
	v_fma_f64 v[103:104], v[72:73], s[24:25], -v[111:112]
	v_add_f64 v[80:81], v[91:92], v[80:81]
	v_fma_f64 v[91:92], v[32:33], s[22:23], v[107:108]
	v_add_f64 v[95:96], v[97:98], v[95:96]
	v_mul_f64 v[97:98], v[20:21], s[44:45]
	v_fma_f64 v[107:108], v[70:71], s[24:25], v[113:114]
	v_add_f64 v[101:102], v[101:102], v[78:79]
	v_fma_f64 v[109:110], v[30:31], s[22:23], -v[115:116]
	v_add_f64 v[78:79], v[103:104], v[93:94]
	v_mul_f64 v[93:94], v[18:19], s[44:45]
	v_add_f64 v[91:92], v[91:92], v[80:81]
	v_fma_f64 v[103:104], v[48:49], s[20:21], v[105:106]
	v_fma_f64 v[105:106], v[16:17], s[24:25], -v[97:98]
	v_mul_f64 v[115:116], v[28:29], s[38:39]
	v_add_f64 v[80:81], v[107:108], v[95:96]
	v_add_f64 v[95:96], v[109:110], v[101:102]
	v_fma_f64 v[99:100], v[44:45], s[20:21], -v[99:100]
	v_fma_f64 v[101:102], v[14:15], s[24:25], v[93:94]
	v_mul_f64 v[107:108], v[26:27], s[38:39]
	v_add_f64 v[91:92], v[103:104], v[91:92]
	v_add_f64 v[64:65], v[105:106], v[64:65]
	v_fma_f64 v[103:104], v[24:25], s[22:23], -v[115:116]
	v_mul_f64 v[105:106], v[40:41], s[36:37]
	v_fma_f64 v[109:110], v[72:73], s[24:25], v[111:112]
	v_add_f64 v[95:96], v[99:100], v[95:96]
	v_add_f64 v[99:100], v[101:102], v[62:63]
	v_fma_f64 v[101:102], v[22:23], s[22:23], v[107:108]
	v_mul_f64 v[111:112], v[36:37], s[36:37]
	v_fma_f64 v[113:114], v[70:71], s[24:25], -v[113:114]
	v_add_f64 v[103:104], v[103:104], v[64:65]
	v_fma_f64 v[117:118], v[32:33], s[12:13], -v[105:106]
	v_add_f64 v[62:63], v[109:110], v[91:92]
	v_mul_f64 v[91:92], v[58:59], s[46:47]
	v_fma_f64 v[97:98], v[16:17], s[24:25], v[97:98]
	v_add_f64 v[99:100], v[101:102], v[99:100]
	v_fma_f64 v[101:102], v[30:31], s[12:13], v[111:112]
	v_mul_f64 v[109:110], v[54:55], s[46:47]
	v_add_f64 v[64:65], v[113:114], v[95:96]
	v_add_f64 v[95:96], v[117:118], v[103:104]
	v_fma_f64 v[93:94], v[14:15], s[24:25], -v[93:94]
	v_fma_f64 v[103:104], v[48:49], s[28:29], -v[91:92]
	v_add_f64 v[46:47], v[97:98], v[46:47]
	v_fma_f64 v[97:98], v[24:25], s[22:23], v[115:116]
	v_add_f64 v[99:100], v[101:102], v[99:100]
	v_fma_f64 v[101:102], v[44:45], s[28:29], v[109:110]
	v_mul_f64 v[113:114], v[76:77], s[42:43]
	v_mul_f64 v[115:116], v[74:75], s[42:43]
	v_add_f64 v[42:43], v[93:94], v[42:43]
	v_fma_f64 v[93:94], v[22:23], s[22:23], -v[107:108]
	v_add_f64 v[95:96], v[103:104], v[95:96]
	v_add_f64 v[46:47], v[97:98], v[46:47]
	v_fma_f64 v[97:98], v[32:33], s[12:13], v[105:106]
	v_add_f64 v[99:100], v[101:102], v[99:100]
	v_fma_f64 v[101:102], v[72:73], s[20:21], -v[113:114]
	v_fma_f64 v[103:104], v[70:71], s[20:21], v[115:116]
	v_mul_f64 v[105:106], v[20:21], s[34:35]
	v_add_f64 v[42:43], v[93:94], v[42:43]
	v_fma_f64 v[107:108], v[30:31], s[12:13], -v[111:112]
	v_mul_f64 v[111:112], v[18:19], s[34:35]
	v_add_f64 v[46:47], v[97:98], v[46:47]
	v_fma_f64 v[97:98], v[48:49], s[28:29], v[91:92]
	v_add_f64 v[91:92], v[101:102], v[95:96]
	v_add_f64 v[93:94], v[103:104], v[99:100]
	v_fma_f64 v[95:96], v[16:17], s[12:13], -v[105:106]
	v_mul_f64 v[99:100], v[28:29], s[30:31]
	v_add_f64 v[42:43], v[107:108], v[42:43]
	v_fma_f64 v[101:102], v[14:15], s[12:13], v[111:112]
	v_fma_f64 v[107:108], v[72:73], s[20:21], v[113:114]
	v_add_f64 v[46:47], v[97:98], v[46:47]
	v_fma_f64 v[97:98], v[44:45], s[28:29], -v[109:110]
	v_mul_f64 v[109:110], v[40:41], s[46:47]
	v_add_f64 v[52:53], v[95:96], v[52:53]
	v_fma_f64 v[95:96], v[24:25], s[20:21], -v[99:100]
	v_mul_f64 v[20:21], v[20:21], s[38:39]
	v_add_f64 v[101:102], v[101:102], v[50:51]
	v_mul_f64 v[103:104], v[26:27], s[30:31]
	v_add_f64 v[50:51], v[107:108], v[46:47]
	;; [unrolled: 2-line block ×3, first 2 shown]
	v_fma_f64 v[97:98], v[70:71], s[20:21], -v[115:116]
	v_add_f64 v[46:47], v[95:96], v[52:53]
	v_fma_f64 v[95:96], v[32:33], s[28:29], -v[109:110]
	v_mul_f64 v[18:19], v[18:19], s[38:39]
	v_mul_f64 v[28:29], v[28:29], s[26:27]
	v_fma_f64 v[113:114], v[22:23], s[20:21], v[103:104]
	v_fma_f64 v[105:106], v[16:17], s[12:13], v[105:106]
	v_mul_f64 v[26:27], v[26:27], s[26:27]
	v_add_f64 v[52:53], v[97:98], v[42:43]
	v_fma_f64 v[97:98], v[14:15], s[12:13], -v[111:112]
	v_add_f64 v[46:47], v[95:96], v[46:47]
	v_fma_f64 v[95:96], v[48:49], s[22:23], -v[107:108]
	v_mul_f64 v[40:41], v[40:41], s[42:43]
	v_mul_f64 v[117:118], v[36:37], s[46:47]
	v_fma_f64 v[99:100], v[24:25], s[20:21], v[99:100]
	v_mul_f64 v[36:37], v[36:37], s[42:43]
	v_add_f64 v[38:39], v[105:106], v[38:39]
	v_add_f64 v[34:35], v[97:98], v[34:35]
	v_fma_f64 v[97:98], v[22:23], s[20:21], -v[103:104]
	v_add_f64 v[46:47], v[95:96], v[46:47]
	v_fma_f64 v[95:96], v[16:17], s[22:23], -v[20:21]
	v_fma_f64 v[103:104], v[24:25], s[24:25], -v[28:29]
	v_fma_f64 v[16:17], v[16:17], s[22:23], v[20:21]
	v_fma_f64 v[24:25], v[24:25], s[24:25], v[28:29]
	v_mul_f64 v[28:29], v[58:59], s[16:17]
	v_mul_f64 v[42:43], v[54:55], s[38:39]
	;; [unrolled: 1-line block ×3, first 2 shown]
	v_add_f64 v[101:102], v[113:114], v[101:102]
	v_add_f64 v[56:57], v[95:96], v[56:57]
	v_fma_f64 v[95:96], v[14:15], s[22:23], v[18:19]
	v_fma_f64 v[14:15], v[14:15], s[22:23], -v[18:19]
	v_fma_f64 v[18:19], v[32:33], s[20:21], -v[40:41]
	v_add_f64 v[16:17], v[16:17], v[68:69]
	v_fma_f64 v[113:114], v[30:31], s[28:29], v[117:118]
	v_add_f64 v[38:39], v[99:100], v[38:39]
	v_fma_f64 v[99:100], v[32:33], s[28:29], v[109:110]
	v_add_f64 v[56:57], v[103:104], v[56:57]
	v_add_f64 v[66:67], v[95:96], v[66:67]
	v_fma_f64 v[95:96], v[22:23], s[24:25], v[26:27]
	v_add_f64 v[14:15], v[14:15], v[60:61]
	v_fma_f64 v[22:23], v[22:23], s[24:25], -v[26:27]
	v_fma_f64 v[26:27], v[30:31], s[20:21], v[36:37]
	v_add_f64 v[16:17], v[24:25], v[16:17]
	v_fma_f64 v[24:25], v[48:49], s[14:15], -v[28:29]
	v_add_f64 v[18:19], v[18:19], v[56:57]
	v_add_f64 v[34:35], v[97:98], v[34:35]
	;; [unrolled: 1-line block ×3, first 2 shown]
	v_fma_f64 v[97:98], v[30:31], s[28:29], -v[117:118]
	v_fma_f64 v[32:33], v[32:33], s[20:21], v[40:41]
	v_add_f64 v[14:15], v[22:23], v[14:15]
	v_fma_f64 v[22:23], v[30:31], s[20:21], -v[36:37]
	v_add_f64 v[101:102], v[113:114], v[101:102]
	v_add_f64 v[24:25], v[24:25], v[18:19]
	v_fma_f64 v[18:19], v[44:45], s[14:15], v[54:55]
	v_add_f64 v[26:27], v[26:27], v[58:59]
	v_fma_f64 v[105:106], v[44:45], s[22:23], v[42:43]
	v_add_f64 v[38:39], v[99:100], v[38:39]
	v_add_f64 v[20:21], v[97:98], v[34:35]
	v_fma_f64 v[34:35], v[48:49], s[22:23], v[107:108]
	v_add_f64 v[16:17], v[32:33], v[16:17]
	v_fma_f64 v[28:29], v[48:49], s[14:15], v[28:29]
	v_mul_f64 v[30:31], v[76:77], s[16:17]
	v_add_f64 v[14:15], v[22:23], v[14:15]
	v_mul_f64 v[22:23], v[74:75], s[16:17]
	v_fma_f64 v[42:43], v[44:45], s[22:23], -v[42:43]
	v_mul_f64 v[36:37], v[76:77], s[34:35]
	v_add_f64 v[26:27], v[18:19], v[26:27]
	v_mul_f64 v[18:19], v[74:75], s[34:35]
	v_fma_f64 v[32:33], v[44:45], s[14:15], -v[54:55]
	v_add_f64 v[101:102], v[105:106], v[101:102]
	v_add_f64 v[34:35], v[34:35], v[38:39]
	;; [unrolled: 1-line block ×3, first 2 shown]
	v_fma_f64 v[16:17], v[72:73], s[14:15], -v[30:31]
	v_fma_f64 v[38:39], v[70:71], s[14:15], v[22:23]
	v_add_f64 v[20:21], v[42:43], v[20:21]
	v_fma_f64 v[22:23], v[70:71], s[14:15], -v[22:23]
	v_fma_f64 v[40:41], v[72:73], s[12:13], -v[36:37]
	v_fma_f64 v[42:43], v[70:71], s[12:13], v[18:19]
	v_add_f64 v[32:33], v[32:33], v[14:15]
	v_fma_f64 v[36:37], v[72:73], s[12:13], v[36:37]
	v_fma_f64 v[44:45], v[70:71], s[12:13], -v[18:19]
	v_fma_f64 v[30:31], v[72:73], s[14:15], v[30:31]
	v_add_f64 v[14:15], v[16:17], v[46:47]
	v_add_f64 v[16:17], v[38:39], v[101:102]
	;; [unrolled: 1-line block ×8, first 2 shown]
	ds_write_b128 v82, v[1:4]
	ds_write_b128 v82, v[9:12] offset:208
	ds_write_b128 v82, v[83:86] offset:416
	ds_write_b128 v82, v[78:81] offset:624
	ds_write_b128 v82, v[91:94] offset:832
	ds_write_b128 v82, v[14:17] offset:1040
	ds_write_b128 v82, v[22:25] offset:1248
	ds_write_b128 v82, v[26:29] offset:1456
	ds_write_b128 v82, v[18:21] offset:1664
	v_mul_u32_u24_e32 v1, 0x1556, v0
	v_lshrrev_b32_e32 v2, 16, v1
	v_mul_lo_u16_e32 v1, 12, v2
	v_sub_u16_e32 v3, v0, v1
	v_mad_u64_u32 v[9:10], s[8:9], s0, v3, 0
	v_mul_lo_u32 v12, s2, v2
	ds_write_b128 v82, v[50:53] offset:1872
	v_mov_b32_e32 v0, v10
	v_mad_u64_u32 v[0:1], s[0:1], s1, v3, v[0:1]
	s_lshl_b64 s[0:1], s[6:7], 4
	s_add_u32 s3, s18, s0
	s_addc_u32 s6, s19, s1
	s_lshl_b64 s[0:1], s[4:5], 4
	s_add_u32 s3, s3, s0
	v_mov_b32_e32 v10, v0
	v_mul_lo_u16_e32 v0, 0xa9, v3
	s_addc_u32 s4, s6, s1
	s_lshl_b64 s[0:1], s[10:11], 4
	ds_write_b128 v82, v[62:65] offset:2080
	ds_write_b128 v82, v[87:90] offset:2288
	;; [unrolled: 1-line block ×3, first 2 shown]
	v_lshlrev_b32_e32 v6, 4, v0
	v_lshlrev_b32_e32 v7, 4, v2
	s_add_u32 s0, s3, s0
	v_lshlrev_b64 v[4:5], 4, v[9:10]
	v_add3_u32 v0, 0, v6, v7
	s_addc_u32 s1, s4, s1
	s_waitcnt lgkmcnt(0)
	s_barrier
	ds_read_b128 v[0:3], v0
	v_mov_b32_e32 v8, s1
	v_add_co_u32_e32 v10, vcc, s0, v4
	v_addc_co_u32_e32 v11, vcc, v8, v5, vcc
	v_lshlrev_b64 v[4:5], 4, v[12:13]
	v_add3_u32 v14, 0, v7, v6
	v_add_co_u32_e32 v8, vcc, v10, v4
	s_mul_i32 s0, s2, 13
	v_addc_co_u32_e32 v9, vcc, v11, v5, vcc
	ds_read_b128 v[4:7], v14 offset:208
	v_add_u32_e32 v12, s0, v12
	s_waitcnt lgkmcnt(1)
	global_store_dwordx4 v[8:9], v[0:3], off
	s_nop 0
	v_lshlrev_b64 v[0:1], 4, v[12:13]
	v_add_u32_e32 v12, s0, v12
	v_add_co_u32_e32 v0, vcc, v10, v0
	v_addc_co_u32_e32 v1, vcc, v11, v1, vcc
	s_waitcnt lgkmcnt(0)
	global_store_dwordx4 v[0:1], v[4:7], off
	ds_read_b128 v[0:3], v14 offset:416
	v_lshlrev_b64 v[4:5], 4, v[12:13]
	v_add_u32_e32 v12, s0, v12
	v_add_co_u32_e32 v8, vcc, v10, v4
	v_addc_co_u32_e32 v9, vcc, v11, v5, vcc
	ds_read_b128 v[4:7], v14 offset:624
	s_waitcnt lgkmcnt(1)
	global_store_dwordx4 v[8:9], v[0:3], off
	s_nop 0
	v_lshlrev_b64 v[0:1], 4, v[12:13]
	v_add_u32_e32 v12, s0, v12
	v_add_co_u32_e32 v0, vcc, v10, v0
	v_addc_co_u32_e32 v1, vcc, v11, v1, vcc
	s_waitcnt lgkmcnt(0)
	global_store_dwordx4 v[0:1], v[4:7], off
	ds_read_b128 v[0:3], v14 offset:832
	v_lshlrev_b64 v[4:5], 4, v[12:13]
	v_add_u32_e32 v12, s0, v12
	v_add_co_u32_e32 v8, vcc, v10, v4
	v_addc_co_u32_e32 v9, vcc, v11, v5, vcc
	ds_read_b128 v[4:7], v14 offset:1040
	;; [unrolled: 15-line block ×5, first 2 shown]
	s_waitcnt lgkmcnt(1)
	global_store_dwordx4 v[8:9], v[0:3], off
	s_nop 0
	v_lshlrev_b64 v[0:1], 4, v[12:13]
	v_add_u32_e32 v12, s0, v12
	v_add_co_u32_e32 v0, vcc, v10, v0
	v_addc_co_u32_e32 v1, vcc, v11, v1, vcc
	s_waitcnt lgkmcnt(0)
	global_store_dwordx4 v[0:1], v[4:7], off
	ds_read_b128 v[0:3], v14 offset:2496
	v_lshlrev_b64 v[4:5], 4, v[12:13]
	v_add_co_u32_e32 v4, vcc, v10, v4
	v_addc_co_u32_e32 v5, vcc, v11, v5, vcc
	s_waitcnt lgkmcnt(0)
	global_store_dwordx4 v[4:5], v[0:3], off
	s_endpgm
	.section	.rodata,"a",@progbits
	.p2align	6, 0x0
	.amdhsa_kernel fft_rtc_fwd_len169_factors_13_13_wgs_156_tpt_13_dp_op_CI_CI_sbrc_xy_z_diag
		.amdhsa_group_segment_fixed_size 0
		.amdhsa_private_segment_fixed_size 0
		.amdhsa_kernarg_size 104
		.amdhsa_user_sgpr_count 6
		.amdhsa_user_sgpr_private_segment_buffer 1
		.amdhsa_user_sgpr_dispatch_ptr 0
		.amdhsa_user_sgpr_queue_ptr 0
		.amdhsa_user_sgpr_kernarg_segment_ptr 1
		.amdhsa_user_sgpr_dispatch_id 0
		.amdhsa_user_sgpr_flat_scratch_init 0
		.amdhsa_user_sgpr_private_segment_size 0
		.amdhsa_uses_dynamic_stack 0
		.amdhsa_system_sgpr_private_segment_wavefront_offset 0
		.amdhsa_system_sgpr_workgroup_id_x 1
		.amdhsa_system_sgpr_workgroup_id_y 0
		.amdhsa_system_sgpr_workgroup_id_z 0
		.amdhsa_system_sgpr_workgroup_info 0
		.amdhsa_system_vgpr_workitem_id 0
		.amdhsa_next_free_vgpr 129
		.amdhsa_next_free_sgpr 53
		.amdhsa_reserve_vcc 1
		.amdhsa_reserve_flat_scratch 0
		.amdhsa_float_round_mode_32 0
		.amdhsa_float_round_mode_16_64 0
		.amdhsa_float_denorm_mode_32 3
		.amdhsa_float_denorm_mode_16_64 3
		.amdhsa_dx10_clamp 1
		.amdhsa_ieee_mode 1
		.amdhsa_fp16_overflow 0
		.amdhsa_exception_fp_ieee_invalid_op 0
		.amdhsa_exception_fp_denorm_src 0
		.amdhsa_exception_fp_ieee_div_zero 0
		.amdhsa_exception_fp_ieee_overflow 0
		.amdhsa_exception_fp_ieee_underflow 0
		.amdhsa_exception_fp_ieee_inexact 0
		.amdhsa_exception_int_div_zero 0
	.end_amdhsa_kernel
	.text
.Lfunc_end0:
	.size	fft_rtc_fwd_len169_factors_13_13_wgs_156_tpt_13_dp_op_CI_CI_sbrc_xy_z_diag, .Lfunc_end0-fft_rtc_fwd_len169_factors_13_13_wgs_156_tpt_13_dp_op_CI_CI_sbrc_xy_z_diag
                                        ; -- End function
	.section	.AMDGPU.csdata,"",@progbits
; Kernel info:
; codeLenInByte = 10504
; NumSgprs: 57
; NumVgprs: 129
; ScratchSize: 0
; MemoryBound: 0
; FloatMode: 240
; IeeeMode: 1
; LDSByteSize: 0 bytes/workgroup (compile time only)
; SGPRBlocks: 7
; VGPRBlocks: 32
; NumSGPRsForWavesPerEU: 57
; NumVGPRsForWavesPerEU: 129
; Occupancy: 1
; WaveLimiterHint : 1
; COMPUTE_PGM_RSRC2:SCRATCH_EN: 0
; COMPUTE_PGM_RSRC2:USER_SGPR: 6
; COMPUTE_PGM_RSRC2:TRAP_HANDLER: 0
; COMPUTE_PGM_RSRC2:TGID_X_EN: 1
; COMPUTE_PGM_RSRC2:TGID_Y_EN: 0
; COMPUTE_PGM_RSRC2:TGID_Z_EN: 0
; COMPUTE_PGM_RSRC2:TIDIG_COMP_CNT: 0
	.type	__hip_cuid_e915ca62ad0042,@object ; @__hip_cuid_e915ca62ad0042
	.section	.bss,"aw",@nobits
	.globl	__hip_cuid_e915ca62ad0042
__hip_cuid_e915ca62ad0042:
	.byte	0                               ; 0x0
	.size	__hip_cuid_e915ca62ad0042, 1

	.ident	"AMD clang version 19.0.0git (https://github.com/RadeonOpenCompute/llvm-project roc-6.4.0 25133 c7fe45cf4b819c5991fe208aaa96edf142730f1d)"
	.section	".note.GNU-stack","",@progbits
	.addrsig
	.addrsig_sym __hip_cuid_e915ca62ad0042
	.amdgpu_metadata
---
amdhsa.kernels:
  - .args:
      - .actual_access:  read_only
        .address_space:  global
        .offset:         0
        .size:           8
        .value_kind:     global_buffer
      - .offset:         8
        .size:           8
        .value_kind:     by_value
      - .actual_access:  read_only
        .address_space:  global
        .offset:         16
        .size:           8
        .value_kind:     global_buffer
      - .actual_access:  read_only
        .address_space:  global
        .offset:         24
        .size:           8
        .value_kind:     global_buffer
      - .actual_access:  read_only
        .address_space:  global
        .offset:         32
        .size:           8
        .value_kind:     global_buffer
      - .offset:         40
        .size:           8
        .value_kind:     by_value
      - .actual_access:  read_only
        .address_space:  global
        .offset:         48
        .size:           8
        .value_kind:     global_buffer
      - .actual_access:  read_only
        .address_space:  global
        .offset:         56
        .size:           8
        .value_kind:     global_buffer
      - .offset:         64
        .size:           4
        .value_kind:     by_value
      - .actual_access:  read_only
        .address_space:  global
        .offset:         72
        .size:           8
        .value_kind:     global_buffer
      - .actual_access:  read_only
        .address_space:  global
        .offset:         80
        .size:           8
        .value_kind:     global_buffer
      - .actual_access:  read_only
        .address_space:  global
        .offset:         88
        .size:           8
        .value_kind:     global_buffer
      - .actual_access:  write_only
        .address_space:  global
        .offset:         96
        .size:           8
        .value_kind:     global_buffer
    .group_segment_fixed_size: 0
    .kernarg_segment_align: 8
    .kernarg_segment_size: 104
    .language:       OpenCL C
    .language_version:
      - 2
      - 0
    .max_flat_workgroup_size: 156
    .name:           fft_rtc_fwd_len169_factors_13_13_wgs_156_tpt_13_dp_op_CI_CI_sbrc_xy_z_diag
    .private_segment_fixed_size: 0
    .sgpr_count:     57
    .sgpr_spill_count: 0
    .symbol:         fft_rtc_fwd_len169_factors_13_13_wgs_156_tpt_13_dp_op_CI_CI_sbrc_xy_z_diag.kd
    .uniform_work_group_size: 1
    .uses_dynamic_stack: false
    .vgpr_count:     129
    .vgpr_spill_count: 0
    .wavefront_size: 64
amdhsa.target:   amdgcn-amd-amdhsa--gfx906
amdhsa.version:
  - 1
  - 2
...

	.end_amdgpu_metadata
